;; amdgpu-corpus repo=ROCm/rocFFT kind=compiled arch=gfx906 opt=O3
	.text
	.amdgcn_target "amdgcn-amd-amdhsa--gfx906"
	.amdhsa_code_object_version 6
	.protected	fft_rtc_back_len1350_factors_5_10_3_3_3_wgs_135_tpt_135_halfLds_dp_ip_CI_sbrr_dirReg ; -- Begin function fft_rtc_back_len1350_factors_5_10_3_3_3_wgs_135_tpt_135_halfLds_dp_ip_CI_sbrr_dirReg
	.globl	fft_rtc_back_len1350_factors_5_10_3_3_3_wgs_135_tpt_135_halfLds_dp_ip_CI_sbrr_dirReg
	.p2align	8
	.type	fft_rtc_back_len1350_factors_5_10_3_3_3_wgs_135_tpt_135_halfLds_dp_ip_CI_sbrr_dirReg,@function
fft_rtc_back_len1350_factors_5_10_3_3_3_wgs_135_tpt_135_halfLds_dp_ip_CI_sbrr_dirReg: ; @fft_rtc_back_len1350_factors_5_10_3_3_3_wgs_135_tpt_135_halfLds_dp_ip_CI_sbrr_dirReg
; %bb.0:
	s_load_dwordx2 s[2:3], s[4:5], 0x18
	s_load_dwordx4 s[8:11], s[4:5], 0x0
	s_load_dwordx2 s[14:15], s[4:5], 0x50
	v_mul_u32_u24_e32 v1, 0x1e6, v0
	v_add_u32_sdwa v5, s6, v1 dst_sel:DWORD dst_unused:UNUSED_PAD src0_sel:DWORD src1_sel:WORD_1
	s_waitcnt lgkmcnt(0)
	s_load_dwordx2 s[12:13], s[2:3], 0x0
	v_cmp_lt_u64_e64 s[0:1], s[10:11], 2
	v_mov_b32_e32 v3, 0
	v_mov_b32_e32 v1, 0
	;; [unrolled: 1-line block ×3, first 2 shown]
	s_and_b64 vcc, exec, s[0:1]
	v_mov_b32_e32 v2, 0
	s_cbranch_vccnz .LBB0_8
; %bb.1:
	s_load_dwordx2 s[0:1], s[4:5], 0x10
	s_add_u32 s6, s2, 8
	s_addc_u32 s7, s3, 0
	v_mov_b32_e32 v1, 0
	v_mov_b32_e32 v2, 0
	s_waitcnt lgkmcnt(0)
	s_add_u32 s16, s0, 8
	s_addc_u32 s17, s1, 0
	s_mov_b64 s[18:19], 1
.LBB0_2:                                ; =>This Inner Loop Header: Depth=1
	s_load_dwordx2 s[20:21], s[16:17], 0x0
                                        ; implicit-def: $vgpr7_vgpr8
	s_waitcnt lgkmcnt(0)
	v_or_b32_e32 v4, s21, v6
	v_cmp_ne_u64_e32 vcc, 0, v[3:4]
	s_and_saveexec_b64 s[0:1], vcc
	s_xor_b64 s[22:23], exec, s[0:1]
	s_cbranch_execz .LBB0_4
; %bb.3:                                ;   in Loop: Header=BB0_2 Depth=1
	v_cvt_f32_u32_e32 v4, s20
	v_cvt_f32_u32_e32 v7, s21
	s_sub_u32 s0, 0, s20
	s_subb_u32 s1, 0, s21
	v_mac_f32_e32 v4, 0x4f800000, v7
	v_rcp_f32_e32 v4, v4
	v_mul_f32_e32 v4, 0x5f7ffffc, v4
	v_mul_f32_e32 v7, 0x2f800000, v4
	v_trunc_f32_e32 v7, v7
	v_mac_f32_e32 v4, 0xcf800000, v7
	v_cvt_u32_f32_e32 v7, v7
	v_cvt_u32_f32_e32 v4, v4
	v_mul_lo_u32 v8, s0, v7
	v_mul_hi_u32 v9, s0, v4
	v_mul_lo_u32 v11, s1, v4
	v_mul_lo_u32 v10, s0, v4
	v_add_u32_e32 v8, v9, v8
	v_add_u32_e32 v8, v8, v11
	v_mul_hi_u32 v9, v4, v10
	v_mul_lo_u32 v11, v4, v8
	v_mul_hi_u32 v13, v4, v8
	v_mul_hi_u32 v12, v7, v10
	v_mul_lo_u32 v10, v7, v10
	v_mul_hi_u32 v14, v7, v8
	v_add_co_u32_e32 v9, vcc, v9, v11
	v_addc_co_u32_e32 v11, vcc, 0, v13, vcc
	v_mul_lo_u32 v8, v7, v8
	v_add_co_u32_e32 v9, vcc, v9, v10
	v_addc_co_u32_e32 v9, vcc, v11, v12, vcc
	v_addc_co_u32_e32 v10, vcc, 0, v14, vcc
	v_add_co_u32_e32 v8, vcc, v9, v8
	v_addc_co_u32_e32 v9, vcc, 0, v10, vcc
	v_add_co_u32_e32 v4, vcc, v4, v8
	v_addc_co_u32_e32 v7, vcc, v7, v9, vcc
	v_mul_lo_u32 v8, s0, v7
	v_mul_hi_u32 v9, s0, v4
	v_mul_lo_u32 v10, s1, v4
	v_mul_lo_u32 v11, s0, v4
	v_add_u32_e32 v8, v9, v8
	v_add_u32_e32 v8, v8, v10
	v_mul_lo_u32 v12, v4, v8
	v_mul_hi_u32 v13, v4, v11
	v_mul_hi_u32 v14, v4, v8
	;; [unrolled: 1-line block ×3, first 2 shown]
	v_mul_lo_u32 v11, v7, v11
	v_mul_hi_u32 v9, v7, v8
	v_add_co_u32_e32 v12, vcc, v13, v12
	v_addc_co_u32_e32 v13, vcc, 0, v14, vcc
	v_mul_lo_u32 v8, v7, v8
	v_add_co_u32_e32 v11, vcc, v12, v11
	v_addc_co_u32_e32 v10, vcc, v13, v10, vcc
	v_addc_co_u32_e32 v9, vcc, 0, v9, vcc
	v_add_co_u32_e32 v8, vcc, v10, v8
	v_addc_co_u32_e32 v9, vcc, 0, v9, vcc
	v_add_co_u32_e32 v4, vcc, v4, v8
	v_addc_co_u32_e32 v9, vcc, v7, v9, vcc
	v_mad_u64_u32 v[7:8], s[0:1], v5, v9, 0
	v_mul_hi_u32 v10, v5, v4
	v_add_co_u32_e32 v11, vcc, v10, v7
	v_addc_co_u32_e32 v12, vcc, 0, v8, vcc
	v_mad_u64_u32 v[7:8], s[0:1], v6, v4, 0
	v_mad_u64_u32 v[9:10], s[0:1], v6, v9, 0
	v_add_co_u32_e32 v4, vcc, v11, v7
	v_addc_co_u32_e32 v4, vcc, v12, v8, vcc
	v_addc_co_u32_e32 v7, vcc, 0, v10, vcc
	v_add_co_u32_e32 v4, vcc, v4, v9
	v_addc_co_u32_e32 v9, vcc, 0, v7, vcc
	v_mul_lo_u32 v10, s21, v4
	v_mul_lo_u32 v11, s20, v9
	v_mad_u64_u32 v[7:8], s[0:1], s20, v4, 0
	v_add3_u32 v8, v8, v11, v10
	v_sub_u32_e32 v10, v6, v8
	v_mov_b32_e32 v11, s21
	v_sub_co_u32_e32 v7, vcc, v5, v7
	v_subb_co_u32_e64 v10, s[0:1], v10, v11, vcc
	v_subrev_co_u32_e64 v11, s[0:1], s20, v7
	v_subbrev_co_u32_e64 v10, s[0:1], 0, v10, s[0:1]
	v_cmp_le_u32_e64 s[0:1], s21, v10
	v_cndmask_b32_e64 v12, 0, -1, s[0:1]
	v_cmp_le_u32_e64 s[0:1], s20, v11
	v_cndmask_b32_e64 v11, 0, -1, s[0:1]
	v_cmp_eq_u32_e64 s[0:1], s21, v10
	v_cndmask_b32_e64 v10, v12, v11, s[0:1]
	v_add_co_u32_e64 v11, s[0:1], 2, v4
	v_addc_co_u32_e64 v12, s[0:1], 0, v9, s[0:1]
	v_add_co_u32_e64 v13, s[0:1], 1, v4
	v_addc_co_u32_e64 v14, s[0:1], 0, v9, s[0:1]
	v_subb_co_u32_e32 v8, vcc, v6, v8, vcc
	v_cmp_ne_u32_e64 s[0:1], 0, v10
	v_cmp_le_u32_e32 vcc, s21, v8
	v_cndmask_b32_e64 v10, v14, v12, s[0:1]
	v_cndmask_b32_e64 v12, 0, -1, vcc
	v_cmp_le_u32_e32 vcc, s20, v7
	v_cndmask_b32_e64 v7, 0, -1, vcc
	v_cmp_eq_u32_e32 vcc, s21, v8
	v_cndmask_b32_e32 v7, v12, v7, vcc
	v_cmp_ne_u32_e32 vcc, 0, v7
	v_cndmask_b32_e64 v7, v13, v11, s[0:1]
	v_cndmask_b32_e32 v8, v9, v10, vcc
	v_cndmask_b32_e32 v7, v4, v7, vcc
.LBB0_4:                                ;   in Loop: Header=BB0_2 Depth=1
	s_andn2_saveexec_b64 s[0:1], s[22:23]
	s_cbranch_execz .LBB0_6
; %bb.5:                                ;   in Loop: Header=BB0_2 Depth=1
	v_cvt_f32_u32_e32 v4, s20
	s_sub_i32 s22, 0, s20
	v_rcp_iflag_f32_e32 v4, v4
	v_mul_f32_e32 v4, 0x4f7ffffe, v4
	v_cvt_u32_f32_e32 v4, v4
	v_mul_lo_u32 v7, s22, v4
	v_mul_hi_u32 v7, v4, v7
	v_add_u32_e32 v4, v4, v7
	v_mul_hi_u32 v4, v5, v4
	v_mul_lo_u32 v7, v4, s20
	v_add_u32_e32 v8, 1, v4
	v_sub_u32_e32 v7, v5, v7
	v_subrev_u32_e32 v9, s20, v7
	v_cmp_le_u32_e32 vcc, s20, v7
	v_cndmask_b32_e32 v7, v7, v9, vcc
	v_cndmask_b32_e32 v4, v4, v8, vcc
	v_add_u32_e32 v8, 1, v4
	v_cmp_le_u32_e32 vcc, s20, v7
	v_cndmask_b32_e32 v7, v4, v8, vcc
	v_mov_b32_e32 v8, v3
.LBB0_6:                                ;   in Loop: Header=BB0_2 Depth=1
	s_or_b64 exec, exec, s[0:1]
	v_mul_lo_u32 v4, v8, s20
	v_mul_lo_u32 v11, v7, s21
	v_mad_u64_u32 v[9:10], s[0:1], v7, s20, 0
	s_load_dwordx2 s[0:1], s[6:7], 0x0
	s_add_u32 s18, s18, 1
	v_add3_u32 v4, v10, v11, v4
	v_sub_co_u32_e32 v5, vcc, v5, v9
	v_subb_co_u32_e32 v4, vcc, v6, v4, vcc
	s_waitcnt lgkmcnt(0)
	v_mul_lo_u32 v4, s0, v4
	v_mul_lo_u32 v6, s1, v5
	v_mad_u64_u32 v[1:2], s[0:1], s0, v5, v[1:2]
	s_addc_u32 s19, s19, 0
	s_add_u32 s6, s6, 8
	v_add3_u32 v2, v6, v2, v4
	v_mov_b32_e32 v4, s10
	v_mov_b32_e32 v5, s11
	s_addc_u32 s7, s7, 0
	v_cmp_ge_u64_e32 vcc, s[18:19], v[4:5]
	s_add_u32 s16, s16, 8
	s_addc_u32 s17, s17, 0
	s_cbranch_vccnz .LBB0_9
; %bb.7:                                ;   in Loop: Header=BB0_2 Depth=1
	v_mov_b32_e32 v5, v7
	v_mov_b32_e32 v6, v8
	s_branch .LBB0_2
.LBB0_8:
	v_mov_b32_e32 v8, v6
	v_mov_b32_e32 v7, v5
.LBB0_9:
	s_lshl_b64 s[0:1], s[10:11], 3
	s_add_u32 s0, s2, s0
	s_addc_u32 s1, s3, s1
	s_load_dwordx2 s[2:3], s[0:1], 0x0
	s_load_dwordx2 s[6:7], s[4:5], 0x20
                                        ; implicit-def: $vgpr77
                                        ; implicit-def: $vgpr76
                                        ; implicit-def: $vgpr75
	s_waitcnt lgkmcnt(0)
	v_mad_u64_u32 v[1:2], s[0:1], s2, v7, v[1:2]
	s_mov_b32 s0, 0x1e573ad
	v_mul_lo_u32 v3, s2, v8
	v_mul_lo_u32 v4, s3, v7
	v_mul_hi_u32 v5, v0, s0
	v_cmp_gt_u64_e32 vcc, s[6:7], v[7:8]
	v_cmp_le_u64_e64 s[0:1], s[6:7], v[7:8]
	v_add3_u32 v2, v4, v2, v3
	v_mul_u32_u24_e32 v3, 0x87, v5
	v_sub_u32_e32 v74, v0, v3
	s_and_saveexec_b64 s[2:3], s[0:1]
	s_xor_b64 s[0:1], exec, s[2:3]
; %bb.10:
	v_add_u32_e32 v77, 0x87, v74
	v_add_u32_e32 v76, 0x10e, v74
	;; [unrolled: 1-line block ×3, first 2 shown]
; %bb.11:
	s_or_saveexec_b64 s[2:3], s[0:1]
	v_lshlrev_b64 v[40:41], 4, v[1:2]
                                        ; implicit-def: $vgpr10_vgpr11
                                        ; implicit-def: $vgpr6_vgpr7
                                        ; implicit-def: $vgpr18_vgpr19
                                        ; implicit-def: $vgpr14_vgpr15
                                        ; implicit-def: $vgpr2_vgpr3
                                        ; implicit-def: $vgpr26_vgpr27
                                        ; implicit-def: $vgpr30_vgpr31
                                        ; implicit-def: $vgpr38_vgpr39
                                        ; implicit-def: $vgpr34_vgpr35
                                        ; implicit-def: $vgpr22_vgpr23
	s_xor_b64 exec, exec, s[2:3]
	s_cbranch_execz .LBB0_13
; %bb.12:
	v_mad_u64_u32 v[0:1], s[0:1], s12, v74, 0
	v_add_u32_e32 v76, 0x10e, v74
	v_mov_b32_e32 v4, s15
	v_mad_u64_u32 v[1:2], s[0:1], s13, v74, v[1:2]
	v_mad_u64_u32 v[2:3], s[0:1], s12, v76, 0
	v_add_co_u32_e64 v8, s[0:1], s14, v40
	v_addc_co_u32_e64 v9, s[0:1], v4, v41, s[0:1]
	v_mad_u64_u32 v[3:4], s[0:1], s13, v76, v[3:4]
	v_add_u32_e32 v6, 0x21c, v74
	v_mad_u64_u32 v[4:5], s[0:1], s12, v6, 0
	v_lshlrev_b64 v[0:1], 4, v[0:1]
	v_add_u32_e32 v77, 0x87, v74
	v_add_co_u32_e64 v42, s[0:1], v8, v0
	v_addc_co_u32_e64 v43, s[0:1], v9, v1, s[0:1]
	v_lshlrev_b64 v[0:1], 4, v[2:3]
	v_mov_b32_e32 v2, v5
	v_mad_u64_u32 v[2:3], s[0:1], s13, v6, v[2:3]
	v_add_u32_e32 v3, 0x32a, v74
	v_mad_u64_u32 v[6:7], s[0:1], s12, v3, 0
	v_add_co_u32_e64 v44, s[0:1], v8, v0
	v_mov_b32_e32 v5, v2
	v_mov_b32_e32 v2, v7
	v_addc_co_u32_e64 v45, s[0:1], v9, v1, s[0:1]
	v_lshlrev_b64 v[0:1], 4, v[4:5]
	v_mad_u64_u32 v[2:3], s[0:1], s13, v3, v[2:3]
	v_add_u32_e32 v5, 0x438, v74
	v_mad_u64_u32 v[3:4], s[0:1], s12, v5, 0
	v_add_co_u32_e64 v46, s[0:1], v8, v0
	v_mov_b32_e32 v7, v2
	v_mov_b32_e32 v2, v4
	v_addc_co_u32_e64 v47, s[0:1], v9, v1, s[0:1]
	v_mad_u64_u32 v[4:5], s[0:1], s13, v5, v[2:3]
	v_lshlrev_b64 v[0:1], 4, v[6:7]
	v_mad_u64_u32 v[5:6], s[0:1], s12, v77, 0
	v_add_co_u32_e64 v48, s[0:1], v8, v0
	v_mov_b32_e32 v2, v6
	v_addc_co_u32_e64 v49, s[0:1], v9, v1, s[0:1]
	v_lshlrev_b64 v[0:1], 4, v[3:4]
	v_mad_u64_u32 v[2:3], s[0:1], s13, v77, v[2:3]
	v_add_u32_e32 v75, 0x195, v74
	v_mad_u64_u32 v[3:4], s[0:1], s12, v75, 0
	v_add_co_u32_e64 v50, s[0:1], v8, v0
	v_mov_b32_e32 v6, v2
	v_mov_b32_e32 v2, v4
	v_addc_co_u32_e64 v51, s[0:1], v9, v1, s[0:1]
	v_lshlrev_b64 v[0:1], 4, v[5:6]
	v_mad_u64_u32 v[4:5], s[0:1], s13, v75, v[2:3]
	v_add_u32_e32 v7, 0x2a3, v74
	v_mad_u64_u32 v[5:6], s[0:1], s12, v7, 0
	v_add_co_u32_e64 v52, s[0:1], v8, v0
	v_mov_b32_e32 v2, v6
	v_addc_co_u32_e64 v53, s[0:1], v9, v1, s[0:1]
	v_lshlrev_b64 v[0:1], 4, v[3:4]
	v_mad_u64_u32 v[2:3], s[0:1], s13, v7, v[2:3]
	v_add_u32_e32 v7, 0x3b1, v74
	v_mad_u64_u32 v[3:4], s[0:1], s12, v7, 0
	v_add_co_u32_e64 v54, s[0:1], v8, v0
	v_mov_b32_e32 v6, v2
	v_mov_b32_e32 v2, v4
	v_addc_co_u32_e64 v55, s[0:1], v9, v1, s[0:1]
	v_lshlrev_b64 v[0:1], 4, v[5:6]
	v_mad_u64_u32 v[4:5], s[0:1], s13, v7, v[2:3]
	v_add_u32_e32 v7, 0x4bf, v74
	v_mad_u64_u32 v[5:6], s[0:1], s12, v7, 0
	v_add_co_u32_e64 v56, s[0:1], v8, v0
	v_mov_b32_e32 v2, v6
	v_addc_co_u32_e64 v57, s[0:1], v9, v1, s[0:1]
	v_lshlrev_b64 v[0:1], 4, v[3:4]
	v_mad_u64_u32 v[2:3], s[0:1], s13, v7, v[2:3]
	v_add_co_u32_e64 v58, s[0:1], v8, v0
	v_mov_b32_e32 v6, v2
	v_addc_co_u32_e64 v59, s[0:1], v9, v1, s[0:1]
	v_lshlrev_b64 v[0:1], 4, v[5:6]
	v_add_co_u32_e64 v60, s[0:1], v8, v0
	v_addc_co_u32_e64 v61, s[0:1], v9, v1, s[0:1]
	global_load_dwordx4 v[20:23], v[42:43], off
	global_load_dwordx4 v[32:35], v[44:45], off
	;; [unrolled: 1-line block ×10, first 2 shown]
.LBB0_13:
	s_or_b64 exec, exec, s[2:3]
	s_waitcnt vmcnt(8)
	v_add_f64 v[42:43], v[32:33], v[20:21]
	v_add_f64 v[44:45], v[34:35], v[22:23]
	s_waitcnt vmcnt(6)
	v_add_f64 v[46:47], v[28:29], v[36:37]
	v_add_f64 v[50:51], v[32:33], -v[36:37]
	v_add_f64 v[52:53], v[36:37], -v[32:33]
	;; [unrolled: 1-line block ×4, first 2 shown]
	v_add_f64 v[54:55], v[30:31], v[38:39]
	v_add_f64 v[36:37], v[36:37], v[42:43]
	;; [unrolled: 1-line block ×3, first 2 shown]
	v_add_f64 v[44:45], v[34:35], -v[38:39]
	v_add_f64 v[58:59], v[38:39], -v[34:35]
	s_waitcnt vmcnt(5)
	v_add_f64 v[38:39], v[34:35], -v[26:27]
	v_add_f64 v[34:35], v[26:27], v[34:35]
	s_waitcnt vmcnt(3)
	v_add_f64 v[66:67], v[12:13], v[0:1]
	v_add_f64 v[68:69], v[14:15], v[2:3]
	;; [unrolled: 1-line block ×5, first 2 shown]
	v_add_f64 v[32:33], v[32:33], -v[24:25]
	v_add_f64 v[62:63], v[24:25], -v[28:29]
	;; [unrolled: 1-line block ×5, first 2 shown]
	v_add_f64 v[24:25], v[24:25], v[36:37]
	v_add_f64 v[36:37], v[26:27], v[42:43]
	v_fma_f64 v[26:27], v[46:47], -0.5, v[20:21]
	v_fma_f64 v[46:47], v[54:55], -0.5, v[22:23]
	;; [unrolled: 1-line block ×3, first 2 shown]
	s_waitcnt vmcnt(2)
	v_add_f64 v[34:35], v[16:17], v[66:67]
	v_add_f64 v[42:43], v[18:19], v[68:69]
	v_fma_f64 v[20:21], v[60:61], -0.5, v[20:21]
	s_mov_b32 s6, 0x134454ff
	s_waitcnt vmcnt(1)
	v_add_f64 v[54:55], v[4:5], v[16:17]
	s_mov_b32 s7, 0xbfee6f0e
	s_mov_b32 s3, 0x3fee6f0e
	;; [unrolled: 1-line block ×3, first 2 shown]
	v_add_f64 v[34:35], v[4:5], v[34:35]
	v_add_f64 v[42:43], v[6:7], v[42:43]
	v_add_f64 v[60:61], v[18:19], -v[6:7]
	v_add_f64 v[70:71], v[6:7], v[18:19]
	v_add_f64 v[72:73], v[14:15], -v[18:19]
	v_add_f64 v[18:19], v[18:19], -v[14:15]
	s_waitcnt vmcnt(0)
	v_add_f64 v[78:79], v[14:15], -v[10:11]
	v_add_f64 v[14:15], v[10:11], v[14:15]
	v_add_f64 v[84:85], v[10:11], -v[6:7]
	v_add_f64 v[86:87], v[6:7], -v[10:11]
	v_add_f64 v[6:7], v[8:9], v[34:35]
	v_add_f64 v[34:35], v[10:11], v[42:43]
	;; [unrolled: 1-line block ×3, first 2 shown]
	v_fma_f64 v[28:29], v[48:49], s[2:3], v[20:21]
	v_fma_f64 v[20:21], v[48:49], s[6:7], v[20:21]
	;; [unrolled: 1-line block ×3, first 2 shown]
	v_add_f64 v[80:81], v[8:9], v[12:13]
	v_fma_f64 v[26:27], v[38:39], s[2:3], v[26:27]
	s_mov_b32 s10, 0x4755a5e
	v_add_f64 v[66:67], v[12:13], -v[16:17]
	v_add_f64 v[68:69], v[16:17], -v[12:13]
	;; [unrolled: 1-line block ×6, first 2 shown]
	v_fma_f64 v[8:9], v[54:55], -0.5, v[0:1]
	s_mov_b32 s11, 0xbfe2cf23
	s_mov_b32 s5, 0x3fe2cf23
	;; [unrolled: 1-line block ×3, first 2 shown]
	v_fma_f64 v[54:55], v[70:71], -0.5, v[2:3]
	v_fma_f64 v[14:15], v[14:15], -0.5, v[2:3]
	v_add_f64 v[2:3], v[62:63], v[50:51]
	v_fma_f64 v[28:29], v[38:39], s[10:11], v[28:29]
	v_fma_f64 v[20:21], v[38:39], s[4:5], v[20:21]
	;; [unrolled: 1-line block ×3, first 2 shown]
	v_fma_f64 v[0:1], v[80:81], -0.5, v[0:1]
	v_fma_f64 v[26:27], v[48:49], s[4:5], v[26:27]
	s_mov_b32 s16, 0x372fe950
	v_fma_f64 v[48:49], v[78:79], s[6:7], v[8:9]
	s_mov_b32 s17, 0x3fd3c6ef
	v_fma_f64 v[28:29], v[10:11], s[16:17], v[28:29]
	v_fma_f64 v[10:11], v[10:11], s[16:17], v[20:21]
	;; [unrolled: 1-line block ×6, first 2 shown]
	v_add_f64 v[42:43], v[82:83], v[66:67]
	v_mad_u32_u24 v38, v74, 40, 0
	v_fma_f64 v[48:49], v[60:61], s[10:11], v[48:49]
	ds_write2_b64 v38, v[24:25], v[52:53] offset1:1
	ds_write2_b64 v38, v[28:29], v[10:11] offset0:2 offset1:3
	ds_write_b64 v38, v[2:3] offset:32
	v_fma_f64 v[24:25], v[56:57], s[6:7], v[22:23]
	v_fma_f64 v[22:23], v[56:57], s[2:3], v[22:23]
	v_add_f64 v[4:5], v[4:5], v[68:69]
	v_fma_f64 v[50:51], v[78:79], s[10:11], v[50:51]
	v_fma_f64 v[8:9], v[78:79], s[2:3], v[8:9]
	;; [unrolled: 1-line block ×15, first 2 shown]
	v_add_f64 v[44:45], v[64:65], v[44:45]
	v_fma_f64 v[4:5], v[56:57], s[4:5], v[62:63]
	v_add_f64 v[30:31], v[30:31], v[58:59]
	v_fma_f64 v[46:47], v[56:57], s[10:11], v[46:47]
	;; [unrolled: 2-line block ×4, first 2 shown]
	v_fma_f64 v[12:13], v[12:13], s[10:11], v[14:15]
	v_fma_f64 v[14:15], v[16:17], s[10:11], v[50:51]
	v_mad_i32_i24 v70, v77, 40, 0
	v_fma_f64 v[8:9], v[42:43], s[16:17], v[8:9]
	ds_write2_b64 v70, v[6:7], v[20:21] offset1:1
	ds_write2_b64 v70, v[26:27], v[0:1] offset0:2 offset1:3
	v_fma_f64 v[20:21], v[44:45], s[16:17], v[4:5]
	v_fma_f64 v[16:17], v[30:31], s[16:17], v[24:25]
	;; [unrolled: 1-line block ×7, first 2 shown]
	v_lshlrev_b32_e32 v39, 5, v74
	v_fma_f64 v[14:15], v[52:53], s[16:17], v[14:15]
	v_sub_u32_e32 v2, v38, v39
	v_lshlrev_b32_e32 v42, 5, v77
	v_sub_u32_e32 v3, v70, v42
	v_lshl_add_u32 v79, v76, 3, 0
	v_add_u32_e32 v43, 0x2000, v2
	s_movk_i32 s0, 0xcd
	ds_write_b64 v70, v[8:9] offset:32
	s_waitcnt lgkmcnt(0)
	s_barrier
	v_lshl_add_u32 v78, v75, 3, 0
	v_add_u32_e32 v64, 0x1000, v2
	v_add_u32_e32 v71, 0x1800, v2
	ds_read_b64 v[68:69], v79
	ds_read_b64 v[88:89], v3
	;; [unrolled: 1-line block ×4, first 2 shown]
	ds_read2_b64 v[4:7], v64 offset0:28 offset1:163
	ds_read2_b64 v[8:11], v71 offset0:42 offset1:177
	;; [unrolled: 1-line block ×3, first 2 shown]
	s_waitcnt lgkmcnt(0)
	s_barrier
	ds_write2_b64 v38, v[36:37], v[20:21] offset1:1
	ds_write2_b64 v38, v[16:17], v[22:23] offset0:2 offset1:3
	ds_write_b64 v38, v[24:25] offset:32
	ds_write2_b64 v70, v[34:35], v[30:31] offset1:1
	ds_write2_b64 v70, v[32:33], v[12:13] offset0:2 offset1:3
	ds_write_b64 v70, v[14:15] offset:32
	v_mul_lo_u16_sdwa v12, v74, s0 dst_sel:DWORD dst_unused:UNUSED_PAD src0_sel:BYTE_0 src1_sel:DWORD
	v_lshrrev_b16_e32 v94, 10, v12
	v_mul_lo_u16_e32 v12, 5, v94
	v_sub_u16_e32 v95, v74, v12
	v_mov_b32_e32 v12, 9
	v_mul_u32_u24_sdwa v12, v95, v12 dst_sel:DWORD dst_unused:UNUSED_PAD src0_sel:BYTE_0 src1_sel:DWORD
	v_lshlrev_b32_e32 v20, 4, v12
	s_waitcnt lgkmcnt(0)
	s_barrier
	global_load_dwordx4 v[12:15], v20, s[8:9] offset:48
	global_load_dwordx4 v[16:19], v20, s[8:9] offset:64
	;; [unrolled: 1-line block ×8, first 2 shown]
	global_load_dwordx4 v[60:63], v20, s[8:9]
	ds_read2_b64 v[64:67], v64 offset0:28 offset1:163
	ds_read2_b64 v[80:83], v71 offset0:42 offset1:177
	;; [unrolled: 1-line block ×3, first 2 shown]
	s_mov_b32 s18, 0x9b97f4a8
	s_mov_b32 s19, 0x3fe9e377
	;; [unrolled: 1-line block ×4, first 2 shown]
	v_sub_u32_e32 v39, 0, v39
	s_waitcnt vmcnt(8) lgkmcnt(2)
	v_mul_f64 v[20:21], v[64:65], v[14:15]
	v_mul_f64 v[14:15], v[4:5], v[14:15]
	s_waitcnt vmcnt(4) lgkmcnt(0)
	v_mul_f64 v[71:72], v[84:85], v[46:47]
	v_mul_f64 v[46:47], v[26:27], v[46:47]
	v_fma_f64 v[22:23], v[4:5], v[12:13], v[20:21]
	v_mul_f64 v[4:5], v[66:67], v[18:19]
	v_fma_f64 v[12:13], v[64:65], v[12:13], -v[14:15]
	v_mul_f64 v[64:65], v[82:83], v[36:37]
	v_mul_f64 v[14:15], v[6:7], v[18:19]
	;; [unrolled: 1-line block ×5, first 2 shown]
	v_fma_f64 v[26:27], v[26:27], v[44:45], v[71:72]
	v_fma_f64 v[4:5], v[6:7], v[16:17], v[4:5]
	v_mov_b32_e32 v71, 3
	v_fma_f64 v[6:7], v[10:11], v[34:35], v[64:65]
	s_waitcnt vmcnt(3)
	v_mul_f64 v[10:11], v[86:87], v[50:51]
	v_fma_f64 v[24:25], v[8:9], v[30:31], v[18:19]
	ds_read_b64 v[8:9], v79
	v_fma_f64 v[20:21], v[66:67], v[16:17], -v[14:15]
	v_fma_f64 v[18:19], v[80:81], v[30:31], -v[32:33]
	;; [unrolled: 1-line block ×3, first 2 shown]
	ds_read_b64 v[30:31], v78
	ds_read_b64 v[32:33], v3
	ds_read_b64 v[44:45], v2
	v_fma_f64 v[16:17], v[82:83], v[34:35], -v[36:37]
	s_waitcnt vmcnt(2) lgkmcnt(3)
	v_mul_f64 v[34:35], v[8:9], v[54:55]
	v_mul_f64 v[36:37], v[28:29], v[50:51]
	s_waitcnt vmcnt(1) lgkmcnt(2)
	v_mul_f64 v[46:47], v[30:31], v[58:59]
	s_waitcnt vmcnt(0) lgkmcnt(1)
	v_mul_f64 v[50:51], v[32:33], v[62:63]
	v_mul_f64 v[58:59], v[90:91], v[58:59]
	;; [unrolled: 1-line block ×3, first 2 shown]
	v_fma_f64 v[10:11], v[28:29], v[48:49], v[10:11]
	v_mul_f64 v[28:29], v[68:69], v[54:55]
	v_fma_f64 v[54:55], v[68:69], v[52:53], v[34:35]
	v_fma_f64 v[36:37], v[86:87], v[48:49], -v[36:37]
	v_fma_f64 v[34:35], v[90:91], v[56:57], v[46:47]
	v_fma_f64 v[64:65], v[88:89], v[60:61], v[50:51]
	v_fma_f64 v[46:47], v[30:31], v[56:57], -v[58:59]
	v_fma_f64 v[48:49], v[32:33], v[60:61], -v[62:63]
	v_add_f64 v[30:31], v[20:21], v[16:17]
	v_fma_f64 v[52:53], v[8:9], v[52:53], -v[28:29]
	v_add_f64 v[28:29], v[22:23], v[24:25]
	v_add_f64 v[58:59], v[4:5], v[6:7]
	v_add_f64 v[60:61], v[34:35], -v[10:11]
	v_add_f64 v[66:67], v[36:37], -v[16:17]
	;; [unrolled: 1-line block ×3, first 2 shown]
	v_add_f64 v[68:69], v[0:1], v[54:55]
	v_fma_f64 v[30:31], v[30:31], -0.5, v[48:49]
	v_add_f64 v[72:73], v[52:53], -v[14:15]
	v_fma_f64 v[28:29], v[28:29], -0.5, v[0:1]
	v_add_f64 v[8:9], v[54:55], -v[22:23]
	v_add_f64 v[32:33], v[26:27], -v[24:25]
	v_fma_f64 v[58:59], v[58:59], -0.5, v[64:65]
	v_add_f64 v[80:81], v[46:47], -v[36:37]
	v_add_f64 v[84:85], v[4:5], -v[6:7]
	v_fma_f64 v[82:83], v[60:61], s[2:3], v[30:31]
	v_add_f64 v[62:63], v[62:63], v[66:67]
	v_add_f64 v[66:67], v[68:69], v[22:23]
	v_fma_f64 v[68:69], v[72:73], s[6:7], v[28:29]
	v_add_f64 v[88:89], v[12:13], -v[18:19]
	v_add_f64 v[50:51], v[34:35], -v[4:5]
	;; [unrolled: 1-line block ×3, first 2 shown]
	v_add_f64 v[86:87], v[64:65], v[34:35]
	v_fma_f64 v[90:91], v[80:81], s[6:7], v[58:59]
	v_add_f64 v[92:93], v[20:21], -v[16:17]
	v_fma_f64 v[82:83], v[84:85], s[4:5], v[82:83]
	v_add_f64 v[8:9], v[8:9], v[32:33]
	v_fma_f64 v[68:69], v[88:89], s[10:11], v[68:69]
	v_add_f64 v[66:67], v[66:67], v[24:25]
	v_add_f64 v[32:33], v[50:51], v[56:57]
	;; [unrolled: 1-line block ×3, first 2 shown]
	v_lshlrev_b32_sdwa v71, v71, v95 dst_sel:DWORD dst_unused:UNUSED_PAD src0_sel:DWORD src1_sel:BYTE_0
	v_fma_f64 v[86:87], v[92:93], s[10:11], v[90:91]
	v_fma_f64 v[56:57], v[62:63], s[16:17], v[82:83]
	v_mul_u32_u24_e32 v82, 0x190, v94
	v_fma_f64 v[94:95], v[8:9], s[16:17], v[68:69]
	v_add_f64 v[68:69], v[46:47], v[36:37]
	v_add_f64 v[100:101], v[34:35], v[10:11]
	v_add3_u32 v71, 0, v82, v71
	v_add_f64 v[82:83], v[50:51], v[6:7]
	v_add_f64 v[90:91], v[66:67], v[26:27]
	v_fma_f64 v[50:51], v[32:33], s[16:17], v[86:87]
	v_mul_f64 v[66:67], v[56:57], s[10:11]
	v_add_f64 v[86:87], v[54:55], v[26:27]
	v_add_f64 v[96:97], v[22:23], -v[54:55]
	v_add_f64 v[98:99], v[24:25], -v[26:27]
	v_fma_f64 v[68:69], v[68:69], -0.5, v[48:49]
	v_fma_f64 v[64:65], v[100:101], -0.5, v[64:65]
	v_add_f64 v[82:83], v[82:83], v[10:11]
	v_add_f64 v[4:5], v[4:5], -v[34:35]
	v_add_f64 v[6:7], v[6:7], -v[10:11]
	v_fma_f64 v[0:1], v[86:87], -0.5, v[0:1]
	v_fma_f64 v[86:87], v[50:51], s[18:19], v[66:67]
	v_add_f64 v[96:97], v[96:97], v[98:99]
	v_add_f64 v[66:67], v[20:21], -v[46:47]
	v_add_f64 v[98:99], v[16:17], -v[36:37]
	v_fma_f64 v[34:35], v[84:85], s[6:7], v[68:69]
	v_fma_f64 v[10:11], v[84:85], s[2:3], v[68:69]
	;; [unrolled: 1-line block ×5, first 2 shown]
	v_add_f64 v[4:5], v[4:5], v[6:7]
	v_fma_f64 v[100:101], v[88:89], s[2:3], v[0:1]
	v_add_f64 v[66:67], v[66:67], v[98:99]
	v_fma_f64 v[34:35], v[60:61], s[4:5], v[34:35]
	v_fma_f64 v[10:11], v[60:61], s[10:11], v[10:11]
	;; [unrolled: 1-line block ×7, first 2 shown]
	s_waitcnt lgkmcnt(0)
	v_fma_f64 v[68:69], v[66:67], s[16:17], v[34:35]
	v_fma_f64 v[34:35], v[80:81], s[4:5], v[64:65]
	;; [unrolled: 1-line block ×8, first 2 shown]
	v_mul_f64 v[28:29], v[68:69], s[6:7]
	v_fma_f64 v[60:61], v[4:5], s[16:17], v[34:35]
	v_mul_f64 v[4:5], v[64:65], s[6:7]
	v_fma_f64 v[10:11], v[88:89], s[4:5], v[10:11]
	v_fma_f64 v[30:31], v[96:97], s[16:17], v[98:99]
	;; [unrolled: 1-line block ×3, first 2 shown]
	v_mul_f64 v[6:7], v[66:67], s[10:11]
	v_fma_f64 v[0:1], v[96:97], s[16:17], v[0:1]
	v_fma_f64 v[28:29], v[58:59], s[16:17], v[28:29]
	v_add_f64 v[32:33], v[94:95], v[86:87]
	v_fma_f64 v[4:5], v[60:61], s[0:1], v[4:5]
	s_mov_b32 s1, 0xbfe9e377
	s_mov_b32 s0, s18
	v_fma_f64 v[8:9], v[8:9], s[16:17], v[10:11]
	v_fma_f64 v[6:7], v[62:63], s[0:1], v[6:7]
	v_add_f64 v[10:11], v[90:91], v[82:83]
	v_add_f64 v[34:35], v[30:31], v[28:29]
	v_add_f64 v[80:81], v[90:91], -v[82:83]
	v_add_f64 v[72:73], v[0:1], v[4:5]
	v_add_f64 v[82:83], v[94:95], -v[86:87]
	v_add_f64 v[30:31], v[30:31], -v[28:29]
	;; [unrolled: 1-line block ×3, first 2 shown]
	v_add_f64 v[84:85], v[8:9], v[6:7]
	v_add_f64 v[28:29], v[8:9], -v[6:7]
	s_barrier
	ds_write2_b64 v71, v[10:11], v[32:33] offset1:5
	ds_write2_b64 v71, v[34:35], v[72:73] offset0:10 offset1:15
	ds_write2_b64 v71, v[84:85], v[80:81] offset0:20 offset1:25
	;; [unrolled: 1-line block ×4, first 2 shown]
	v_add_u32_e32 v0, 0xc00, v2
	v_add_u32_e32 v1, 0x1600, v2
	s_waitcnt lgkmcnt(0)
	s_barrier
	ds_read_b64 v[30:31], v3
	ds_read_b64 v[34:35], v2
	;; [unrolled: 1-line block ×3, first 2 shown]
	ds_read2_b64 v[8:11], v0 offset0:66 offset1:201
	ds_read2_b64 v[4:7], v1 offset0:16 offset1:196
	;; [unrolled: 1-line block ×3, first 2 shown]
	v_add_u32_e32 v80, v38, v39
	v_sub_u32_e32 v72, 0, v42
	v_cmp_gt_u32_e64 s[0:1], 45, v74
                                        ; implicit-def: $vgpr38_vgpr39
                                        ; implicit-def: $vgpr42_vgpr43
	s_and_saveexec_b64 s[20:21], s[0:1]
	s_cbranch_execz .LBB0_15
; %bb.14:
	ds_read_b64 v[28:29], v78
	ds_read_b64 v[42:43], v80 offset:6840
	ds_read_b64 v[38:39], v80 offset:10440
.LBB0_15:
	s_or_b64 exec, exec, s[20:21]
	v_add_f64 v[81:82], v[12:13], v[18:19]
	v_add_f64 v[83:84], v[52:53], v[14:15]
	;; [unrolled: 1-line block ×3, first 2 shown]
	v_add_f64 v[26:27], v[54:55], -v[26:27]
	v_add_f64 v[22:23], v[22:23], -v[24:25]
	v_add_f64 v[46:47], v[48:49], v[46:47]
	v_add_f64 v[24:25], v[52:53], -v[12:13]
	v_add_f64 v[54:55], v[14:15], -v[18:19]
	v_fma_f64 v[81:82], v[81:82], -0.5, v[44:45]
	v_fma_f64 v[44:45], v[83:84], -0.5, v[44:45]
	v_add_f64 v[52:53], v[12:13], -v[52:53]
	v_add_f64 v[83:84], v[18:19], -v[14:15]
	v_mul_f64 v[48:49], v[56:57], s[18:19]
	v_mul_f64 v[56:57], v[68:69], s[16:17]
	v_add_f64 v[12:13], v[85:86], v[12:13]
	v_add_f64 v[20:21], v[46:47], v[20:21]
	v_fma_f64 v[68:69], v[26:27], s[2:3], v[81:82]
	v_fma_f64 v[81:82], v[26:27], s[6:7], v[81:82]
	;; [unrolled: 1-line block ×4, first 2 shown]
	v_add_f64 v[24:25], v[24:25], v[54:55]
	v_add_f64 v[46:47], v[52:53], v[83:84]
	;; [unrolled: 1-line block ×4, first 2 shown]
	v_fma_f64 v[18:19], v[22:23], s[4:5], v[68:69]
	v_fma_f64 v[22:23], v[22:23], s[10:11], v[81:82]
	;; [unrolled: 1-line block ×4, first 2 shown]
	v_mul_f64 v[20:21], v[64:65], s[16:17]
	v_mul_f64 v[44:45], v[66:67], s[18:19]
	v_add_f64 v[12:13], v[12:13], v[14:15]
	v_add_f64 v[16:17], v[16:17], v[36:37]
	v_fma_f64 v[14:15], v[24:25], s[16:17], v[18:19]
	v_fma_f64 v[18:19], v[24:25], s[16:17], v[22:23]
	;; [unrolled: 1-line block ×6, first 2 shown]
	v_fma_f64 v[20:21], v[60:61], s[2:3], -v[20:21]
	v_fma_f64 v[44:45], v[62:63], s[4:5], -v[44:45]
	v_add_f64 v[46:47], v[12:13], v[16:17]
	v_add_f64 v[12:13], v[12:13], -v[16:17]
	s_waitcnt lgkmcnt(0)
	s_barrier
	v_add_f64 v[48:49], v[14:15], v[26:27]
	v_add_f64 v[50:51], v[22:23], v[36:37]
	;; [unrolled: 1-line block ×4, first 2 shown]
	v_add_f64 v[14:15], v[14:15], -v[26:27]
	v_add_f64 v[16:17], v[22:23], -v[36:37]
	;; [unrolled: 1-line block ×4, first 2 shown]
	ds_write2_b64 v71, v[46:47], v[48:49] offset1:5
	ds_write2_b64 v71, v[50:51], v[52:53] offset0:10 offset1:15
	ds_write2_b64 v71, v[54:55], v[12:13] offset0:20 offset1:25
	;; [unrolled: 1-line block ×4, first 2 shown]
	v_add_u32_e32 v12, 0xc00, v80
	s_waitcnt lgkmcnt(0)
	s_barrier
	ds_read2_b64 v[16:19], v12 offset0:66 offset1:201
	v_add_u32_e32 v12, 0x1600, v80
	v_add_u32_e32 v20, 0x2000, v80
	ds_read2_b64 v[12:15], v12 offset0:16 offset1:196
	v_add_u32_e32 v81, v70, v72
	ds_read2_b64 v[20:23], v20 offset0:11 offset1:146
	ds_read_b64 v[46:47], v80
	ds_read_b64 v[44:45], v81
	;; [unrolled: 1-line block ×3, first 2 shown]
                                        ; implicit-def: $vgpr26_vgpr27
                                        ; implicit-def: $vgpr48_vgpr49
	s_and_saveexec_b64 s[2:3], s[0:1]
	s_cbranch_execz .LBB0_17
; %bb.16:
	ds_read_b64 v[24:25], v78
	ds_read_b64 v[48:49], v80 offset:6840
	ds_read_b64 v[26:27], v80 offset:10440
.LBB0_17:
	s_or_b64 exec, exec, s[2:3]
	v_mov_b32_e32 v50, 41
	v_mul_lo_u16_sdwa v50, v74, v50 dst_sel:DWORD dst_unused:UNUSED_PAD src0_sel:BYTE_0 src1_sel:DWORD
	v_lshrrev_b16_e32 v62, 11, v50
	v_mul_lo_u16_e32 v50, 50, v62
	v_sub_u16_e32 v63, v74, v50
	v_mov_b32_e32 v50, 5
	v_lshlrev_b32_sdwa v58, v50, v63 dst_sel:DWORD dst_unused:UNUSED_PAD src0_sel:DWORD src1_sel:BYTE_0
	global_load_dwordx4 v[50:53], v58, s[8:9] offset:736
	global_load_dwordx4 v[54:57], v58, s[8:9] offset:720
	v_lshrrev_b16_e32 v58, 1, v77
	v_mul_u32_u24_e32 v58, 0x147b, v58
	v_lshrrev_b32_e32 v64, 17, v58
	v_mul_lo_u16_e32 v58, 50, v64
	v_sub_u16_e32 v65, v77, v58
	v_lshlrev_b32_e32 v66, 5, v65
	v_lshrrev_b16_e32 v68, 1, v76
	global_load_dwordx4 v[82:85], v66, s[8:9] offset:736
	global_load_dwordx4 v[58:61], v66, s[8:9] offset:720
	v_mul_u32_u24_e32 v66, 0x147b, v68
	v_lshrrev_b32_e32 v66, 17, v66
	v_mul_lo_u16_e32 v67, 50, v66
	v_sub_u16_e32 v67, v76, v67
	v_lshlrev_b32_e32 v69, 5, v67
	global_load_dwordx4 v[86:89], v69, s[8:9] offset:736
	global_load_dwordx4 v[90:93], v69, s[8:9] offset:720
	v_lshrrev_b16_e32 v69, 1, v75
	v_mul_u32_u24_e32 v70, 0x147b, v69
	v_lshrrev_b32_e32 v70, 17, v70
	v_mul_lo_u16_e32 v70, 50, v70
	v_sub_u16_e32 v73, v75, v70
	v_lshlrev_b32_e32 v70, 5, v73
	global_load_dwordx4 v[94:97], v70, s[8:9] offset:720
	global_load_dwordx4 v[98:101], v70, s[8:9] offset:736
	v_mov_b32_e32 v70, 3
	v_mul_u32_u24_e32 v62, 0x4b0, v62
	v_mul_u32_u24_e32 v64, 0x4b0, v64
	v_lshlrev_b32_sdwa v63, v70, v63 dst_sel:DWORD dst_unused:UNUSED_PAD src0_sel:DWORD src1_sel:BYTE_0
	v_lshlrev_b32_e32 v65, 3, v65
	v_add3_u32 v72, 0, v62, v63
	v_add3_u32 v71, 0, v64, v65
	v_mul_u32_u24_e32 v66, 0x4b0, v66
	v_lshlrev_b32_e32 v67, 3, v67
	v_add3_u32 v70, 0, v66, v67
	s_mov_b32 s2, 0xe8584caa
	s_mov_b32 s3, 0xbfebb67a
	;; [unrolled: 1-line block ×4, first 2 shown]
	v_lshl_add_u32 v73, v73, 3, 0
	s_waitcnt vmcnt(0) lgkmcnt(0)
	s_barrier
	v_mul_f64 v[64:65], v[14:15], v[52:53]
	v_mul_f64 v[62:63], v[16:17], v[56:57]
	v_mul_f64 v[56:57], v[8:9], v[56:57]
	v_mul_f64 v[52:53], v[6:7], v[52:53]
	v_mul_f64 v[104:105], v[20:21], v[84:85]
	v_mul_f64 v[84:85], v[0:1], v[84:85]
	v_mul_f64 v[102:103], v[18:19], v[60:61]
	v_mul_f64 v[60:61], v[10:11], v[60:61]
	v_fma_f64 v[62:63], v[8:9], v[54:55], v[62:63]
	v_fma_f64 v[66:67], v[16:17], v[54:55], -v[56:57]
	v_mul_f64 v[108:109], v[22:23], v[88:89]
	v_mul_f64 v[106:107], v[12:13], v[92:93]
	;; [unrolled: 1-line block ×4, first 2 shown]
	v_fma_f64 v[64:65], v[6:7], v[50:51], v[64:65]
	v_fma_f64 v[50:51], v[14:15], v[50:51], -v[52:53]
	v_fma_f64 v[14:15], v[20:21], v[82:83], -v[84:85]
	v_mul_f64 v[110:111], v[48:49], v[96:97]
	v_mul_f64 v[112:113], v[26:27], v[100:101]
	;; [unrolled: 1-line block ×4, first 2 shown]
	v_fma_f64 v[54:55], v[12:13], v[90:91], -v[92:93]
	v_fma_f64 v[12:13], v[22:23], v[86:87], -v[88:89]
	v_fma_f64 v[56:57], v[10:11], v[58:59], v[102:103]
	v_fma_f64 v[60:61], v[18:19], v[58:59], -v[60:61]
	v_fma_f64 v[20:21], v[42:43], v[94:95], v[110:111]
	v_fma_f64 v[22:23], v[38:39], v[98:99], v[112:113]
	;; [unrolled: 1-line block ×5, first 2 shown]
	v_fma_f64 v[48:49], v[48:49], v[94:95], -v[96:97]
	v_fma_f64 v[16:17], v[26:27], v[98:99], -v[100:101]
	v_add_f64 v[2:3], v[62:63], v[64:65]
	v_add_f64 v[0:1], v[34:35], v[62:63]
	;; [unrolled: 1-line block ×4, first 2 shown]
	v_add_f64 v[4:5], v[66:67], -v[50:51]
	v_add_f64 v[38:39], v[18:19], v[52:53]
	v_add_f64 v[26:27], v[32:33], v[18:19]
	v_add_f64 v[82:83], v[28:29], v[20:21]
	v_add_f64 v[86:87], v[48:49], -v[16:17]
	v_fma_f64 v[2:3], v[2:3], -0.5, v[34:35]
	v_fma_f64 v[28:29], v[84:85], -0.5, v[28:29]
	v_add_f64 v[6:7], v[30:31], v[56:57]
	v_add_f64 v[10:11], v[60:61], -v[14:15]
	v_fma_f64 v[8:9], v[8:9], -0.5, v[30:31]
	v_add_f64 v[42:43], v[54:55], -v[12:13]
	v_fma_f64 v[30:31], v[38:39], -0.5, v[32:33]
	v_add_f64 v[0:1], v[0:1], v[64:65]
	v_add_f64 v[34:35], v[26:27], v[52:53]
	;; [unrolled: 1-line block ×3, first 2 shown]
	v_fma_f64 v[38:39], v[4:5], s[2:3], v[2:3]
	v_fma_f64 v[32:33], v[86:87], s[2:3], v[28:29]
	v_fma_f64 v[28:29], v[86:87], s[4:5], v[28:29]
	v_fma_f64 v[2:3], v[4:5], s[4:5], v[2:3]
	v_add_f64 v[6:7], v[6:7], v[58:59]
	v_fma_f64 v[4:5], v[10:11], s[2:3], v[8:9]
	v_fma_f64 v[8:9], v[10:11], s[4:5], v[8:9]
	;; [unrolled: 1-line block ×4, first 2 shown]
	ds_write2_b64 v72, v[0:1], v[38:39] offset1:50
	ds_write_b64 v72, v[2:3] offset:800
	ds_write2_b64 v71, v[6:7], v[4:5] offset1:50
	ds_write_b64 v71, v[8:9] offset:800
	;; [unrolled: 2-line block ×3, first 2 shown]
	s_and_saveexec_b64 s[2:3], s[0:1]
	s_cbranch_execz .LBB0_19
; %bb.18:
	v_add_u32_e32 v0, 0x2000, v73
	ds_write2_b64 v0, v[26:27], v[32:33] offset0:176 offset1:226
	ds_write_b64 v73, v[28:29] offset:10400
.LBB0_19:
	s_or_b64 exec, exec, s[2:3]
	v_add_u32_e32 v4, 0x1600, v80
	s_waitcnt lgkmcnt(0)
	s_barrier
	v_add_u32_e32 v0, 0xc00, v80
	ds_read2_b64 v[8:11], v4 offset0:16 offset1:196
	v_add_u32_e32 v4, 0x2000, v80
	ds_read2_b64 v[0:3], v0 offset0:66 offset1:201
	ds_read2_b64 v[4:7], v4 offset0:11 offset1:146
	ds_read_b64 v[42:43], v80
	ds_read_b64 v[38:39], v81
	;; [unrolled: 1-line block ×3, first 2 shown]
	s_and_saveexec_b64 s[2:3], s[0:1]
	s_cbranch_execz .LBB0_21
; %bb.20:
	ds_read_b64 v[26:27], v78
	ds_read_b64 v[32:33], v80 offset:6840
	ds_read_b64 v[28:29], v80 offset:10440
.LBB0_21:
	s_or_b64 exec, exec, s[2:3]
	v_add_f64 v[30:31], v[66:67], v[50:51]
	v_add_f64 v[66:67], v[46:47], v[66:67]
	v_add_f64 v[62:63], v[62:63], -v[64:65]
	v_add_f64 v[64:65], v[60:61], v[14:15]
	v_add_f64 v[56:57], v[56:57], -v[58:59]
	v_add_f64 v[58:59], v[54:55], v[12:13]
	s_mov_b32 s2, 0xe8584caa
	s_mov_b32 s3, 0x3febb67a
	v_fma_f64 v[30:31], v[30:31], -0.5, v[46:47]
	v_add_f64 v[46:47], v[44:45], v[60:61]
	v_add_f64 v[60:61], v[48:49], v[16:17]
	s_mov_b32 s5, 0xbfebb67a
	s_mov_b32 s4, s2
	v_fma_f64 v[44:45], v[64:65], -0.5, v[44:45]
	v_add_f64 v[48:49], v[24:25], v[48:49]
	v_add_f64 v[20:21], v[20:21], -v[22:23]
	v_fma_f64 v[64:65], v[62:63], s[2:3], v[30:31]
	v_fma_f64 v[62:63], v[62:63], s[4:5], v[30:31]
	v_add_f64 v[30:31], v[36:37], v[54:55]
	v_fma_f64 v[24:25], v[60:61], -0.5, v[24:25]
	v_fma_f64 v[36:37], v[58:59], -0.5, v[36:37]
	v_add_f64 v[18:19], v[18:19], -v[52:53]
	v_add_f64 v[50:51], v[66:67], v[50:51]
	v_add_f64 v[14:15], v[46:47], v[14:15]
	v_fma_f64 v[22:23], v[56:57], s[2:3], v[44:45]
	v_fma_f64 v[46:47], v[56:57], s[4:5], v[44:45]
	v_add_f64 v[12:13], v[30:31], v[12:13]
	v_add_f64 v[30:31], v[48:49], v[16:17]
	v_fma_f64 v[44:45], v[20:21], s[2:3], v[24:25]
	v_fma_f64 v[24:25], v[20:21], s[4:5], v[24:25]
	;; [unrolled: 1-line block ×4, first 2 shown]
	s_waitcnt lgkmcnt(0)
	s_barrier
	ds_write2_b64 v72, v[50:51], v[64:65] offset1:50
	ds_write_b64 v72, v[62:63] offset:800
	ds_write2_b64 v71, v[14:15], v[22:23] offset1:50
	ds_write_b64 v71, v[46:47] offset:800
	;; [unrolled: 2-line block ×3, first 2 shown]
	s_and_saveexec_b64 s[2:3], s[0:1]
	s_cbranch_execz .LBB0_23
; %bb.22:
	v_add_u32_e32 v12, 0x2000, v73
	ds_write2_b64 v12, v[30:31], v[44:45] offset0:176 offset1:226
	ds_write_b64 v73, v[24:25] offset:10400
.LBB0_23:
	s_or_b64 exec, exec, s[2:3]
	v_add_u32_e32 v16, 0x1600, v80
	s_waitcnt lgkmcnt(0)
	s_barrier
	v_add_u32_e32 v12, 0xc00, v80
	ds_read2_b64 v[20:23], v16 offset0:16 offset1:196
	v_add_u32_e32 v16, 0x2000, v80
	ds_read2_b64 v[12:15], v12 offset0:66 offset1:201
	ds_read2_b64 v[16:19], v16 offset0:11 offset1:146
	ds_read_b64 v[52:53], v80
	ds_read_b64 v[50:51], v81
	;; [unrolled: 1-line block ×3, first 2 shown]
	s_and_saveexec_b64 s[2:3], s[0:1]
	s_cbranch_execz .LBB0_25
; %bb.24:
	ds_read_b64 v[30:31], v78
	ds_read_b64 v[44:45], v80 offset:6840
	ds_read_b64 v[24:25], v80 offset:10440
.LBB0_25:
	s_or_b64 exec, exec, s[2:3]
	v_lshlrev_b32_e32 v46, 1, v74
	v_mov_b32_e32 v47, 0
	v_lshlrev_b64 v[36:37], 4, v[46:47]
	v_mul_u32_u24_e32 v62, 0xda75, v68
	v_lshrrev_b32_e32 v72, 22, v62
	v_mov_b32_e32 v70, s9
	v_add_co_u32_e64 v36, s[2:3], s8, v36
	v_mul_lo_u16_e32 v62, 0x96, v72
	v_addc_co_u32_e64 v37, s[2:3], v70, v37, s[2:3]
	v_sub_u16_e32 v73, v76, v62
	v_add_u32_e32 v46, -15, v74
	v_cmp_gt_u32_e64 s[2:3], 15, v74
	v_lshlrev_b32_e32 v66, 5, v73
	global_load_dwordx4 v[54:57], v[36:37], off offset:2336
	global_load_dwordx4 v[58:61], v[36:37], off offset:2320
	v_cndmask_b32_e64 v71, v46, v77, s[2:3]
	global_load_dwordx4 v[62:65], v66, s[8:9] offset:2336
	global_load_dwordx4 v[84:87], v66, s[8:9] offset:2320
	v_mul_u32_u24_e32 v66, 0xda75, v69
	v_lshlrev_b32_e32 v46, 1, v71
	v_lshrrev_b32_e32 v66, 22, v66
	v_lshlrev_b64 v[46:47], 4, v[46:47]
	v_mul_lo_u16_e32 v66, 0x96, v66
	v_sub_u16_e32 v114, v75, v66
	v_lshlrev_b32_e32 v82, 5, v114
	v_add_co_u32_e64 v46, s[2:3], s8, v46
	global_load_dwordx4 v[66:69], v82, s[8:9] offset:2336
	global_load_dwordx4 v[88:91], v82, s[8:9] offset:2320
	v_addc_co_u32_e64 v47, s[2:3], v70, v47, s[2:3]
	global_load_dwordx4 v[92:95], v[46:47], off offset:2320
	global_load_dwordx4 v[96:99], v[46:47], off offset:2336
	v_mov_b32_e32 v46, 0xe10
	v_cmp_lt_u32_e64 s[2:3], 14, v74
	v_cndmask_b32_e64 v46, 0, v46, s[2:3]
	v_lshlrev_b32_e32 v47, 3, v71
	v_mul_u32_u24_e32 v70, 0xe10, v72
	v_add3_u32 v82, 0, v46, v47
	v_lshlrev_b32_e32 v46, 3, v73
	v_add3_u32 v83, 0, v70, v46
	s_mov_b32 s4, 0xe8584caa
	s_mov_b32 s5, 0xbfebb67a
	;; [unrolled: 1-line block ×4, first 2 shown]
	s_waitcnt vmcnt(0) lgkmcnt(0)
	s_barrier
	v_mul_f64 v[70:71], v[22:23], v[56:57]
	v_mul_f64 v[46:47], v[12:13], v[60:61]
	v_mul_f64 v[60:61], v[0:1], v[60:61]
	v_mul_f64 v[56:57], v[10:11], v[56:57]
	v_mul_f64 v[100:101], v[20:21], v[86:87]
	v_mul_f64 v[86:87], v[8:9], v[86:87]
	v_mul_f64 v[102:103], v[18:19], v[64:65]
	v_mul_f64 v[64:65], v[6:7], v[64:65]
	v_fma_f64 v[70:71], v[10:11], v[54:55], v[70:71]
	v_fma_f64 v[72:73], v[12:13], v[58:59], -v[60:61]
	v_fma_f64 v[60:61], v[22:23], v[54:55], -v[56:57]
	v_mul_f64 v[106:107], v[24:25], v[68:69]
	v_mul_f64 v[104:105], v[44:45], v[90:91]
	;; [unrolled: 1-line block ×5, first 2 shown]
	v_fma_f64 v[68:69], v[0:1], v[58:59], v[46:47]
	v_mul_f64 v[90:91], v[32:33], v[90:91]
	v_fma_f64 v[56:57], v[20:21], v[84:85], -v[86:87]
	v_mul_f64 v[94:95], v[2:3], v[94:95]
	v_fma_f64 v[20:21], v[32:33], v[88:89], v[104:105]
	v_fma_f64 v[32:33], v[28:29], v[66:67], v[106:107]
	v_mul_f64 v[98:99], v[4:5], v[98:99]
	v_fma_f64 v[54:55], v[6:7], v[62:63], v[102:103]
	v_fma_f64 v[12:13], v[18:19], v[62:63], -v[64:65]
	v_fma_f64 v[62:63], v[2:3], v[92:93], v[110:111]
	v_fma_f64 v[64:65], v[4:5], v[96:97], v[112:113]
	;; [unrolled: 1-line block ×3, first 2 shown]
	v_add_f64 v[2:3], v[68:69], v[70:71]
	v_fma_f64 v[58:59], v[44:45], v[88:89], -v[90:91]
	v_fma_f64 v[18:19], v[24:25], v[66:67], -v[108:109]
	v_add_f64 v[28:29], v[20:21], v[32:33]
	v_fma_f64 v[66:67], v[14:15], v[92:93], -v[94:95]
	v_fma_f64 v[14:15], v[16:17], v[96:97], -v[98:99]
	v_add_f64 v[16:17], v[62:63], v[64:65]
	v_add_f64 v[8:9], v[22:23], v[54:55]
	v_add_f64 v[0:1], v[42:43], v[68:69]
	v_add_f64 v[4:5], v[72:73], -v[60:61]
	v_fma_f64 v[2:3], v[2:3], -0.5, v[42:43]
	v_add_f64 v[24:25], v[26:27], v[20:21]
	v_add_f64 v[44:45], v[58:59], -v[18:19]
	v_fma_f64 v[26:27], v[28:29], -0.5, v[26:27]
	v_add_f64 v[46:47], v[38:39], v[62:63]
	;; [unrolled: 3-line block ×4, first 2 shown]
	v_fma_f64 v[38:39], v[4:5], s[4:5], v[2:3]
	v_add_f64 v[24:25], v[24:25], v[32:33]
	v_fma_f64 v[2:3], v[4:5], s[6:7], v[2:3]
	v_fma_f64 v[28:29], v[44:45], s[4:5], v[26:27]
	;; [unrolled: 1-line block ×3, first 2 shown]
	v_add_f64 v[34:35], v[46:47], v[64:65]
	v_fma_f64 v[4:5], v[84:85], s[4:5], v[16:17]
	v_fma_f64 v[16:17], v[84:85], s[6:7], v[16:17]
	v_add_f64 v[6:7], v[6:7], v[54:55]
	v_fma_f64 v[42:43], v[10:11], s[4:5], v[8:9]
	v_fma_f64 v[8:9], v[10:11], s[6:7], v[8:9]
	ds_write2_b64 v80, v[0:1], v[38:39] offset1:150
	ds_write_b64 v80, v[2:3] offset:2400
	ds_write2_b64 v82, v[34:35], v[4:5] offset1:150
	ds_write_b64 v82, v[16:17] offset:2400
	;; [unrolled: 2-line block ×3, first 2 shown]
	v_lshl_add_u32 v16, v114, 3, 0
	s_and_saveexec_b64 s[2:3], s[0:1]
	s_cbranch_execz .LBB0_27
; %bb.26:
	v_add_u32_e32 v0, 0x1c00, v16
	ds_write2_b64 v0, v[24:25], v[28:29] offset0:4 offset1:154
	ds_write_b64 v16, v[26:27] offset:9600
.LBB0_27:
	s_or_b64 exec, exec, s[2:3]
	v_add_u32_e32 v0, 0xc00, v80
	s_waitcnt lgkmcnt(0)
	s_barrier
	ds_read2_b64 v[4:7], v0 offset0:66 offset1:201
	v_add_u32_e32 v0, 0x1600, v80
	v_add_u32_e32 v8, 0x2000, v80
	ds_read2_b64 v[0:3], v0 offset0:16 offset1:196
	ds_read2_b64 v[8:11], v8 offset0:11 offset1:146
	ds_read_b64 v[46:47], v80
	ds_read_b64 v[44:45], v81
	;; [unrolled: 1-line block ×3, first 2 shown]
	s_and_saveexec_b64 s[2:3], s[0:1]
	s_cbranch_execz .LBB0_29
; %bb.28:
	ds_read_b64 v[24:25], v78
	ds_read_b64 v[28:29], v80 offset:6840
	ds_read_b64 v[26:27], v80 offset:10440
.LBB0_29:
	s_or_b64 exec, exec, s[2:3]
	v_add_f64 v[34:35], v[72:73], v[60:61]
	v_add_f64 v[38:39], v[52:53], v[72:73]
	v_add_f64 v[68:69], v[68:69], -v[70:71]
	v_add_f64 v[70:71], v[66:67], v[14:15]
	v_add_f64 v[62:63], v[62:63], -v[64:65]
	v_add_f64 v[64:65], v[56:57], v[12:13]
	s_mov_b32 s2, 0xe8584caa
	s_mov_b32 s3, 0x3febb67a
	v_fma_f64 v[34:35], v[34:35], -0.5, v[52:53]
	v_add_f64 v[52:53], v[50:51], v[66:67]
	v_add_f64 v[66:67], v[58:59], v[18:19]
	s_mov_b32 s5, 0xbfebb67a
	s_mov_b32 s4, s2
	v_add_f64 v[38:39], v[38:39], v[60:61]
	v_add_f64 v[22:23], v[22:23], -v[54:55]
	v_add_f64 v[54:55], v[30:31], v[58:59]
	v_fma_f64 v[60:61], v[68:69], s[2:3], v[34:35]
	v_fma_f64 v[68:69], v[68:69], s[4:5], v[34:35]
	v_add_f64 v[34:35], v[48:49], v[56:57]
	v_fma_f64 v[56:57], v[66:67], -0.5, v[30:31]
	v_add_f64 v[20:21], v[20:21], -v[32:33]
	v_fma_f64 v[50:51], v[70:71], -0.5, v[50:51]
	v_fma_f64 v[48:49], v[64:65], -0.5, v[48:49]
	v_add_f64 v[30:31], v[54:55], v[18:19]
	v_add_f64 v[14:15], v[52:53], v[14:15]
	s_waitcnt lgkmcnt(0)
	v_add_f64 v[12:13], v[34:35], v[12:13]
	s_barrier
	v_fma_f64 v[34:35], v[20:21], s[2:3], v[56:57]
	v_fma_f64 v[32:33], v[20:21], s[4:5], v[56:57]
	;; [unrolled: 1-line block ×6, first 2 shown]
	ds_write2_b64 v80, v[38:39], v[60:61] offset1:150
	ds_write_b64 v80, v[68:69] offset:2400
	ds_write2_b64 v82, v[14:15], v[52:53] offset1:150
	ds_write_b64 v82, v[50:51] offset:2400
	;; [unrolled: 2-line block ×3, first 2 shown]
	s_and_saveexec_b64 s[2:3], s[0:1]
	s_cbranch_execz .LBB0_31
; %bb.30:
	v_add_u32_e32 v12, 0x1c00, v16
	ds_write2_b64 v12, v[30:31], v[34:35] offset0:4 offset1:154
	ds_write_b64 v16, v[32:33] offset:9600
.LBB0_31:
	s_or_b64 exec, exec, s[2:3]
	v_add_u32_e32 v12, 0xc00, v80
	s_waitcnt lgkmcnt(0)
	s_barrier
	ds_read2_b64 v[16:19], v12 offset0:66 offset1:201
	v_add_u32_e32 v12, 0x1600, v80
	v_add_u32_e32 v20, 0x2000, v80
	ds_read2_b64 v[12:15], v12 offset0:16 offset1:196
	ds_read2_b64 v[20:23], v20 offset0:11 offset1:146
	ds_read_b64 v[52:53], v80
	ds_read_b64 v[50:51], v81
	;; [unrolled: 1-line block ×3, first 2 shown]
	s_and_saveexec_b64 s[2:3], s[0:1]
	s_cbranch_execz .LBB0_33
; %bb.32:
	ds_read_b64 v[30:31], v78
	ds_read_b64 v[34:35], v80 offset:6840
	ds_read_b64 v[32:33], v80 offset:10440
.LBB0_33:
	s_or_b64 exec, exec, s[2:3]
	s_and_saveexec_b64 s[2:3], vcc
	s_cbranch_execz .LBB0_36
; %bb.34:
	v_lshlrev_b32_e32 v38, 1, v76
	v_mov_b32_e32 v39, 0
	v_lshlrev_b64 v[54:55], 4, v[38:39]
	v_mov_b32_e32 v56, s9
	v_add_co_u32_e32 v38, vcc, s8, v54
	v_addc_co_u32_e32 v72, vcc, v56, v55, vcc
	v_add_co_u32_e32 v80, vcc, 0x1bd0, v38
	v_addc_co_u32_e32 v81, vcc, 0, v72, vcc
	v_add_co_u32_e32 v82, vcc, 0x1000, v38
	v_lshlrev_b32_e32 v38, 1, v77
	v_lshlrev_b64 v[54:55], 4, v[38:39]
	s_movk_i32 s4, 0x1bd0
	v_add_co_u32_e64 v38, s[2:3], s8, v54
	v_addc_co_u32_e64 v64, s[2:3], v56, v55, s[2:3]
	v_add_co_u32_e64 v70, s[2:3], s4, v38
	v_addc_co_u32_e64 v71, s[2:3], 0, v64, s[2:3]
	v_add_co_u32_e64 v62, s[2:3], s4, v36
	s_movk_i32 s6, 0x1000
	v_addc_co_u32_e64 v63, s[2:3], 0, v37, s[2:3]
	v_add_co_u32_e64 v36, s[2:3], s6, v36
	v_addc_co_u32_e64 v37, s[2:3], 0, v37, s[2:3]
	global_load_dwordx4 v[54:57], v[36:37], off offset:3024
	global_load_dwordx4 v[58:61], v[62:63], off offset:16
	v_add_co_u32_e64 v36, s[2:3], s6, v38
	v_addc_co_u32_e64 v37, s[2:3], 0, v64, s[2:3]
	global_load_dwordx4 v[62:65], v[36:37], off offset:3024
	global_load_dwordx4 v[66:69], v[70:71], off offset:16
	v_addc_co_u32_e32 v83, vcc, 0, v72, vcc
	global_load_dwordx4 v[70:73], v[82:83], off offset:3024
	global_load_dwordx4 v[76:79], v[80:81], off offset:16
	v_mad_u64_u32 v[36:37], s[2:3], s12, v74, 0
	s_mov_b32 s2, 0xe8584caa
	s_mov_b32 s3, 0xbfebb67a
	v_mad_u64_u32 v[37:38], s[10:11], s13, v74, v[37:38]
	s_mov_b32 s5, 0x3febb67a
	s_mov_b32 s4, s2
	v_add_u32_e32 v38, 0x1c2, v74
	v_lshlrev_b64 v[36:37], 4, v[36:37]
	s_mov_b32 s7, 0x91a2b3c5
	s_waitcnt vmcnt(5)
	v_mul_f64 v[80:81], v[4:5], v[56:57]
	s_waitcnt vmcnt(4)
	v_mul_f64 v[82:83], v[2:3], v[60:61]
	s_waitcnt lgkmcnt(5)
	v_mul_f64 v[56:57], v[16:17], v[56:57]
	s_waitcnt lgkmcnt(4)
	v_mul_f64 v[60:61], v[14:15], v[60:61]
	s_waitcnt vmcnt(3)
	v_mul_f64 v[84:85], v[6:7], v[64:65]
	s_waitcnt vmcnt(2)
	v_mul_f64 v[86:87], v[8:9], v[68:69]
	v_mul_f64 v[64:65], v[18:19], v[64:65]
	s_waitcnt lgkmcnt(3)
	v_mul_f64 v[68:69], v[20:21], v[68:69]
	s_waitcnt vmcnt(1)
	v_mul_f64 v[88:89], v[0:1], v[72:73]
	s_waitcnt vmcnt(0)
	v_mul_f64 v[90:91], v[10:11], v[78:79]
	v_fma_f64 v[16:17], v[16:17], v[54:55], -v[80:81]
	v_fma_f64 v[14:15], v[14:15], v[58:59], -v[82:83]
	v_mul_f64 v[72:73], v[12:13], v[72:73]
	v_mul_f64 v[78:79], v[22:23], v[78:79]
	v_fma_f64 v[4:5], v[4:5], v[54:55], v[56:57]
	v_fma_f64 v[2:3], v[2:3], v[58:59], v[60:61]
	;; [unrolled: 1-line block ×4, first 2 shown]
	v_fma_f64 v[18:19], v[18:19], v[62:63], -v[84:85]
	v_fma_f64 v[8:9], v[12:13], v[70:71], -v[88:89]
	;; [unrolled: 1-line block ×3, first 2 shown]
	v_add_f64 v[22:23], v[16:17], v[14:15]
	v_fma_f64 v[0:1], v[0:1], v[70:71], v[72:73]
	v_fma_f64 v[10:11], v[10:11], v[76:77], v[78:79]
	v_fma_f64 v[20:21], v[20:21], v[66:67], -v[86:87]
	s_waitcnt lgkmcnt(2)
	v_add_f64 v[58:59], v[52:53], v[16:17]
	v_add_f64 v[60:61], v[16:17], -v[14:15]
	v_add_f64 v[16:17], v[4:5], v[2:3]
	v_add_f64 v[70:71], v[6:7], v[54:55]
	v_add_f64 v[56:57], v[4:5], -v[2:3]
	s_waitcnt lgkmcnt(1)
	v_add_f64 v[68:69], v[50:51], v[18:19]
	v_fma_f64 v[22:23], v[22:23], -0.5, v[52:53]
	v_add_f64 v[62:63], v[46:47], v[4:5]
	v_add_f64 v[76:77], v[0:1], -v[10:11]
	v_add_f64 v[82:83], v[0:1], v[10:11]
	v_add_f64 v[0:1], v[42:43], v[0:1]
	;; [unrolled: 1-line block ×3, first 2 shown]
	v_add_f64 v[66:67], v[6:7], -v[54:55]
	v_add_f64 v[18:19], v[18:19], -v[20:21]
	v_add_f64 v[6:7], v[44:45], v[6:7]
	v_add_f64 v[4:5], v[58:59], v[14:15]
	v_fma_f64 v[58:59], v[16:17], -0.5, v[46:47]
	v_fma_f64 v[46:47], v[70:71], -0.5, v[44:45]
	v_add_f64 v[72:73], v[8:9], v[12:13]
	s_waitcnt lgkmcnt(0)
	v_add_f64 v[78:79], v[48:49], v[8:9]
	v_add_f64 v[80:81], v[8:9], -v[12:13]
	v_add_f64 v[8:9], v[68:69], v[20:21]
	v_fma_f64 v[16:17], v[56:57], s[2:3], v[22:23]
	v_fma_f64 v[20:21], v[56:57], s[4:5], v[22:23]
	v_mad_u64_u32 v[22:23], s[10:11], s12, v38, 0
	v_add_f64 v[2:3], v[62:63], v[2:3]
	v_add_f64 v[10:11], v[0:1], v[10:11]
	v_mov_b32_e32 v1, s15
	v_add_co_u32_e32 v0, vcc, s14, v40
	v_addc_co_u32_e32 v1, vcc, v1, v41, vcc
	v_mad_u64_u32 v[40:41], s[10:11], s13, v38, v[23:24]
	v_add_f64 v[6:7], v[6:7], v[54:55]
	v_fma_f64 v[54:55], v[82:83], -0.5, v[42:43]
	v_fma_f64 v[42:43], v[18:19], s[4:5], v[46:47]
	v_fma_f64 v[46:47], v[18:19], s[2:3], v[46:47]
	;; [unrolled: 1-line block ×3, first 2 shown]
	v_add_co_u32_e32 v36, vcc, v0, v36
	v_addc_co_u32_e32 v37, vcc, v1, v37, vcc
	v_mov_b32_e32 v23, v40
	global_store_dwordx4 v[36:37], v[2:5], off
	v_fma_f64 v[14:15], v[64:65], -0.5, v[50:51]
	v_lshlrev_b64 v[2:3], 4, v[22:23]
	v_add_u32_e32 v22, 0x384, v74
	v_mad_u64_u32 v[4:5], s[10:11], s12, v22, 0
	v_add_co_u32_e32 v2, vcc, v0, v2
	v_addc_co_u32_e32 v3, vcc, v1, v3, vcc
	global_store_dwordx4 v[2:3], v[18:21], off
	v_mov_b32_e32 v2, v5
	v_mad_u64_u32 v[2:3], s[10:11], s13, v22, v[2:3]
	v_add_u32_e32 v18, 0x87, v74
	v_mul_hi_u32 v19, v18, s7
	v_mov_b32_e32 v5, v2
	s_movk_i32 s14, 0x384
	v_lshlrev_b64 v[2:3], 4, v[4:5]
	v_lshrrev_b32_e32 v4, 8, v19
	v_mad_u32_u24 v21, v4, s14, v18
	v_mad_u64_u32 v[4:5], s[10:11], s12, v21, 0
	v_fma_f64 v[50:51], v[72:73], -0.5, v[48:49]
	v_fma_f64 v[44:45], v[66:67], s[2:3], v[14:15]
	v_fma_f64 v[48:49], v[66:67], s[4:5], v[14:15]
	;; [unrolled: 1-line block ×3, first 2 shown]
	v_mad_u64_u32 v[18:19], s[10:11], s13, v21, v[5:6]
	v_add_u32_e32 v22, 0x1c2, v21
	v_mad_u64_u32 v[19:20], s[10:11], s12, v22, 0
	v_add_co_u32_e32 v2, vcc, v0, v2
	v_addc_co_u32_e32 v3, vcc, v1, v3, vcc
	v_mov_b32_e32 v5, v18
	global_store_dwordx4 v[2:3], v[14:17], off
	v_lshlrev_b64 v[2:3], 4, v[4:5]
	v_mov_b32_e32 v4, v20
	v_mad_u64_u32 v[4:5], s[10:11], s13, v22, v[4:5]
	v_add_co_u32_e32 v2, vcc, v0, v2
	v_addc_co_u32_e32 v3, vcc, v1, v3, vcc
	global_store_dwordx4 v[2:3], v[6:9], off
	v_mov_b32_e32 v20, v4
	v_add_u32_e32 v6, 0x384, v21
	v_mad_u64_u32 v[4:5], s[10:11], s12, v6, 0
	v_add_u32_e32 v7, 0x10e, v74
	v_mul_hi_u32 v8, v7, s7
	v_mad_u64_u32 v[5:6], s[10:11], s13, v6, v[5:6]
	v_lshlrev_b64 v[2:3], 4, v[19:20]
	v_lshrrev_b32_e32 v6, 8, v8
	v_mad_u32_u24 v8, v6, s14, v7
	v_mad_u64_u32 v[6:7], s[10:11], s12, v8, 0
	v_add_co_u32_e32 v2, vcc, v0, v2
	v_addc_co_u32_e32 v3, vcc, v1, v3, vcc
	global_store_dwordx4 v[2:3], v[46:49], off
	v_lshlrev_b64 v[2:3], 4, v[4:5]
	v_mov_b32_e32 v4, v7
	v_mad_u64_u32 v[4:5], s[10:11], s13, v8, v[4:5]
	v_add_co_u32_e32 v2, vcc, v0, v2
	v_addc_co_u32_e32 v3, vcc, v1, v3, vcc
	v_mov_b32_e32 v7, v4
	global_store_dwordx4 v[2:3], v[42:45], off
	v_lshlrev_b64 v[2:3], 4, v[6:7]
	v_add_u32_e32 v6, 0x1c2, v8
	v_mad_u64_u32 v[4:5], s[10:11], s12, v6, 0
	v_add_f64 v[12:13], v[78:79], v[12:13]
	v_add_u32_e32 v8, 0x384, v8
	v_mad_u64_u32 v[5:6], s[10:11], s13, v6, v[5:6]
	v_mad_u64_u32 v[6:7], s[10:11], s12, v8, 0
	v_fma_f64 v[52:53], v[76:77], s[2:3], v[50:51]
	v_fma_f64 v[56:57], v[76:77], s[4:5], v[50:51]
	;; [unrolled: 1-line block ×4, first 2 shown]
	v_add_co_u32_e32 v2, vcc, v0, v2
	v_addc_co_u32_e32 v3, vcc, v1, v3, vcc
	global_store_dwordx4 v[2:3], v[10:13], off
	v_lshlrev_b64 v[2:3], 4, v[4:5]
	v_mov_b32_e32 v4, v7
	v_mad_u64_u32 v[4:5], s[10:11], s13, v8, v[4:5]
	v_add_co_u32_e32 v2, vcc, v0, v2
	v_addc_co_u32_e32 v3, vcc, v1, v3, vcc
	v_mov_b32_e32 v7, v4
	global_store_dwordx4 v[2:3], v[54:57], off
	v_lshlrev_b64 v[2:3], 4, v[6:7]
	v_add_co_u32_e32 v2, vcc, v0, v2
	v_addc_co_u32_e32 v3, vcc, v1, v3, vcc
	global_store_dwordx4 v[2:3], v[50:53], off
	s_and_b64 exec, exec, s[0:1]
	s_cbranch_execz .LBB0_36
; %bb.35:
	v_subrev_u32_e32 v2, 45, v74
	v_cndmask_b32_e64 v2, v2, v75, s[0:1]
	v_lshlrev_b32_e32 v38, 1, v2
	v_lshlrev_b64 v[2:3], 4, v[38:39]
	v_mov_b32_e32 v4, s9
	v_add_co_u32_e32 v2, vcc, s8, v2
	v_addc_co_u32_e32 v7, vcc, v4, v3, vcc
	v_add_co_u32_e32 v6, vcc, 0x1bd0, v2
	s_mov_b64 s[0:1], vcc
	v_add_co_u32_e32 v2, vcc, s6, v2
	v_addc_co_u32_e32 v3, vcc, 0, v7, vcc
	global_load_dwordx4 v[2:5], v[2:3], off offset:3024
	v_addc_co_u32_e64 v7, vcc, 0, v7, s[0:1]
	global_load_dwordx4 v[6:9], v[6:7], off offset:16
	v_add_u32_e32 v20, 0x195, v74
	v_add_u32_e32 v22, 0x357, v74
	;; [unrolled: 1-line block ×3, first 2 shown]
	v_mad_u64_u32 v[10:11], s[0:1], s12, v20, 0
	v_mad_u64_u32 v[12:13], s[0:1], s12, v22, 0
	;; [unrolled: 1-line block ×5, first 2 shown]
	v_mov_b32_e32 v11, v20
	v_mov_b32_e32 v13, v21
	v_lshlrev_b64 v[20:21], 4, v[12:13]
	s_waitcnt vmcnt(1)
	v_mul_f64 v[16:17], v[34:35], v[4:5]
	v_mul_f64 v[4:5], v[28:29], v[4:5]
	s_waitcnt vmcnt(0)
	v_mul_f64 v[18:19], v[32:33], v[8:9]
	v_mul_f64 v[8:9], v[26:27], v[8:9]
	v_fma_f64 v[16:17], v[28:29], v[2:3], v[16:17]
	v_fma_f64 v[2:3], v[34:35], v[2:3], -v[4:5]
	v_fma_f64 v[4:5], v[26:27], v[6:7], v[18:19]
	v_fma_f64 v[6:7], v[32:33], v[6:7], -v[8:9]
	v_mad_u64_u32 v[8:9], s[0:1], s13, v23, v[15:16]
	v_add_f64 v[12:13], v[24:25], v[16:17]
	v_add_f64 v[26:27], v[30:31], v[2:3]
	v_mov_b32_e32 v15, v8
	v_lshlrev_b64 v[8:9], 4, v[10:11]
	v_add_f64 v[10:11], v[16:17], v[4:5]
	v_add_f64 v[18:19], v[2:3], v[6:7]
	v_add_f64 v[22:23], v[2:3], -v[6:7]
	v_add_f64 v[16:17], v[16:17], -v[4:5]
	v_add_f64 v[2:3], v[12:13], v[4:5]
	v_add_f64 v[4:5], v[26:27], v[6:7]
	v_lshlrev_b64 v[14:15], 4, v[14:15]
	v_fma_f64 v[10:11], v[10:11], -0.5, v[24:25]
	v_fma_f64 v[18:19], v[18:19], -0.5, v[30:31]
	v_add_co_u32_e32 v24, vcc, v0, v8
	v_addc_co_u32_e32 v25, vcc, v1, v9, vcc
	v_fma_f64 v[6:7], v[22:23], s[2:3], v[10:11]
	v_fma_f64 v[8:9], v[16:17], s[4:5], v[18:19]
	v_fma_f64 v[10:11], v[22:23], s[4:5], v[10:11]
	v_fma_f64 v[12:13], v[16:17], s[2:3], v[18:19]
	v_add_co_u32_e32 v16, vcc, v0, v20
	v_addc_co_u32_e32 v17, vcc, v1, v21, vcc
	v_add_co_u32_e32 v0, vcc, v0, v14
	v_addc_co_u32_e32 v1, vcc, v1, v15, vcc
	global_store_dwordx4 v[24:25], v[2:5], off
	global_store_dwordx4 v[16:17], v[6:9], off
	;; [unrolled: 1-line block ×3, first 2 shown]
.LBB0_36:
	s_endpgm
	.section	.rodata,"a",@progbits
	.p2align	6, 0x0
	.amdhsa_kernel fft_rtc_back_len1350_factors_5_10_3_3_3_wgs_135_tpt_135_halfLds_dp_ip_CI_sbrr_dirReg
		.amdhsa_group_segment_fixed_size 0
		.amdhsa_private_segment_fixed_size 0
		.amdhsa_kernarg_size 88
		.amdhsa_user_sgpr_count 6
		.amdhsa_user_sgpr_private_segment_buffer 1
		.amdhsa_user_sgpr_dispatch_ptr 0
		.amdhsa_user_sgpr_queue_ptr 0
		.amdhsa_user_sgpr_kernarg_segment_ptr 1
		.amdhsa_user_sgpr_dispatch_id 0
		.amdhsa_user_sgpr_flat_scratch_init 0
		.amdhsa_user_sgpr_private_segment_size 0
		.amdhsa_uses_dynamic_stack 0
		.amdhsa_system_sgpr_private_segment_wavefront_offset 0
		.amdhsa_system_sgpr_workgroup_id_x 1
		.amdhsa_system_sgpr_workgroup_id_y 0
		.amdhsa_system_sgpr_workgroup_id_z 0
		.amdhsa_system_sgpr_workgroup_info 0
		.amdhsa_system_vgpr_workitem_id 0
		.amdhsa_next_free_vgpr 115
		.amdhsa_next_free_sgpr 24
		.amdhsa_reserve_vcc 1
		.amdhsa_reserve_flat_scratch 0
		.amdhsa_float_round_mode_32 0
		.amdhsa_float_round_mode_16_64 0
		.amdhsa_float_denorm_mode_32 3
		.amdhsa_float_denorm_mode_16_64 3
		.amdhsa_dx10_clamp 1
		.amdhsa_ieee_mode 1
		.amdhsa_fp16_overflow 0
		.amdhsa_exception_fp_ieee_invalid_op 0
		.amdhsa_exception_fp_denorm_src 0
		.amdhsa_exception_fp_ieee_div_zero 0
		.amdhsa_exception_fp_ieee_overflow 0
		.amdhsa_exception_fp_ieee_underflow 0
		.amdhsa_exception_fp_ieee_inexact 0
		.amdhsa_exception_int_div_zero 0
	.end_amdhsa_kernel
	.text
.Lfunc_end0:
	.size	fft_rtc_back_len1350_factors_5_10_3_3_3_wgs_135_tpt_135_halfLds_dp_ip_CI_sbrr_dirReg, .Lfunc_end0-fft_rtc_back_len1350_factors_5_10_3_3_3_wgs_135_tpt_135_halfLds_dp_ip_CI_sbrr_dirReg
                                        ; -- End function
	.section	.AMDGPU.csdata,"",@progbits
; Kernel info:
; codeLenInByte = 9776
; NumSgprs: 28
; NumVgprs: 115
; ScratchSize: 0
; MemoryBound: 1
; FloatMode: 240
; IeeeMode: 1
; LDSByteSize: 0 bytes/workgroup (compile time only)
; SGPRBlocks: 3
; VGPRBlocks: 28
; NumSGPRsForWavesPerEU: 28
; NumVGPRsForWavesPerEU: 115
; Occupancy: 2
; WaveLimiterHint : 1
; COMPUTE_PGM_RSRC2:SCRATCH_EN: 0
; COMPUTE_PGM_RSRC2:USER_SGPR: 6
; COMPUTE_PGM_RSRC2:TRAP_HANDLER: 0
; COMPUTE_PGM_RSRC2:TGID_X_EN: 1
; COMPUTE_PGM_RSRC2:TGID_Y_EN: 0
; COMPUTE_PGM_RSRC2:TGID_Z_EN: 0
; COMPUTE_PGM_RSRC2:TIDIG_COMP_CNT: 0
	.type	__hip_cuid_70b15ebe538c6021,@object ; @__hip_cuid_70b15ebe538c6021
	.section	.bss,"aw",@nobits
	.globl	__hip_cuid_70b15ebe538c6021
__hip_cuid_70b15ebe538c6021:
	.byte	0                               ; 0x0
	.size	__hip_cuid_70b15ebe538c6021, 1

	.ident	"AMD clang version 19.0.0git (https://github.com/RadeonOpenCompute/llvm-project roc-6.4.0 25133 c7fe45cf4b819c5991fe208aaa96edf142730f1d)"
	.section	".note.GNU-stack","",@progbits
	.addrsig
	.addrsig_sym __hip_cuid_70b15ebe538c6021
	.amdgpu_metadata
---
amdhsa.kernels:
  - .args:
      - .actual_access:  read_only
        .address_space:  global
        .offset:         0
        .size:           8
        .value_kind:     global_buffer
      - .offset:         8
        .size:           8
        .value_kind:     by_value
      - .actual_access:  read_only
        .address_space:  global
        .offset:         16
        .size:           8
        .value_kind:     global_buffer
      - .actual_access:  read_only
        .address_space:  global
        .offset:         24
        .size:           8
        .value_kind:     global_buffer
      - .offset:         32
        .size:           8
        .value_kind:     by_value
      - .actual_access:  read_only
        .address_space:  global
        .offset:         40
        .size:           8
        .value_kind:     global_buffer
      - .actual_access:  read_only
        .address_space:  global
        .offset:         48
        .size:           8
        .value_kind:     global_buffer
      - .offset:         56
        .size:           4
        .value_kind:     by_value
      - .actual_access:  read_only
        .address_space:  global
        .offset:         64
        .size:           8
        .value_kind:     global_buffer
      - .actual_access:  read_only
        .address_space:  global
        .offset:         72
        .size:           8
        .value_kind:     global_buffer
      - .address_space:  global
        .offset:         80
        .size:           8
        .value_kind:     global_buffer
    .group_segment_fixed_size: 0
    .kernarg_segment_align: 8
    .kernarg_segment_size: 88
    .language:       OpenCL C
    .language_version:
      - 2
      - 0
    .max_flat_workgroup_size: 135
    .name:           fft_rtc_back_len1350_factors_5_10_3_3_3_wgs_135_tpt_135_halfLds_dp_ip_CI_sbrr_dirReg
    .private_segment_fixed_size: 0
    .sgpr_count:     28
    .sgpr_spill_count: 0
    .symbol:         fft_rtc_back_len1350_factors_5_10_3_3_3_wgs_135_tpt_135_halfLds_dp_ip_CI_sbrr_dirReg.kd
    .uniform_work_group_size: 1
    .uses_dynamic_stack: false
    .vgpr_count:     115
    .vgpr_spill_count: 0
    .wavefront_size: 64
amdhsa.target:   amdgcn-amd-amdhsa--gfx906
amdhsa.version:
  - 1
  - 2
...

	.end_amdgpu_metadata
